;; amdgpu-corpus repo=ROCm/rocFFT kind=compiled arch=gfx906 opt=O3
	.text
	.amdgcn_target "amdgcn-amd-amdhsa--gfx906"
	.amdhsa_code_object_version 6
	.protected	fft_rtc_fwd_len1001_factors_13_7_11_wgs_182_tpt_91_halfLds_sp_op_CI_CI_sbrr_dirReg ; -- Begin function fft_rtc_fwd_len1001_factors_13_7_11_wgs_182_tpt_91_halfLds_sp_op_CI_CI_sbrr_dirReg
	.globl	fft_rtc_fwd_len1001_factors_13_7_11_wgs_182_tpt_91_halfLds_sp_op_CI_CI_sbrr_dirReg
	.p2align	8
	.type	fft_rtc_fwd_len1001_factors_13_7_11_wgs_182_tpt_91_halfLds_sp_op_CI_CI_sbrr_dirReg,@function
fft_rtc_fwd_len1001_factors_13_7_11_wgs_182_tpt_91_halfLds_sp_op_CI_CI_sbrr_dirReg: ; @fft_rtc_fwd_len1001_factors_13_7_11_wgs_182_tpt_91_halfLds_sp_op_CI_CI_sbrr_dirReg
; %bb.0:
	s_load_dwordx4 s[16:19], s[4:5], 0x18
	s_load_dwordx4 s[12:15], s[4:5], 0x0
	;; [unrolled: 1-line block ×3, first 2 shown]
	v_mul_u32_u24_e32 v1, 0x2d1, v0
	v_lshrrev_b32_e32 v37, 16, v1
	s_waitcnt lgkmcnt(0)
	s_load_dwordx2 s[2:3], s[16:17], 0x0
	s_load_dwordx2 s[20:21], s[18:19], 0x0
	v_cmp_lt_u64_e64 s[0:1], s[14:15], 2
	v_mov_b32_e32 v5, 0
	v_mov_b32_e32 v31, 0
	v_lshl_add_u32 v7, s6, 1, v37
	v_mov_b32_e32 v8, v5
	s_and_b64 vcc, exec, s[0:1]
	v_mov_b32_e32 v32, 0
	s_cbranch_vccnz .LBB0_8
; %bb.1:
	s_load_dwordx2 s[0:1], s[4:5], 0x10
	s_add_u32 s6, s18, 8
	s_addc_u32 s7, s19, 0
	s_add_u32 s22, s16, 8
	s_addc_u32 s23, s17, 0
	v_mov_b32_e32 v31, 0
	s_waitcnt lgkmcnt(0)
	s_add_u32 s24, s0, 8
	v_mov_b32_e32 v32, 0
	v_mov_b32_e32 v1, v31
	s_addc_u32 s25, s1, 0
	s_mov_b64 s[26:27], 1
	v_mov_b32_e32 v2, v32
.LBB0_2:                                ; =>This Inner Loop Header: Depth=1
	s_load_dwordx2 s[28:29], s[24:25], 0x0
                                        ; implicit-def: $vgpr3_vgpr4
	s_waitcnt lgkmcnt(0)
	v_or_b32_e32 v6, s29, v8
	v_cmp_ne_u64_e32 vcc, 0, v[5:6]
	s_and_saveexec_b64 s[0:1], vcc
	s_xor_b64 s[30:31], exec, s[0:1]
	s_cbranch_execz .LBB0_4
; %bb.3:                                ;   in Loop: Header=BB0_2 Depth=1
	v_cvt_f32_u32_e32 v3, s28
	v_cvt_f32_u32_e32 v4, s29
	s_sub_u32 s0, 0, s28
	s_subb_u32 s1, 0, s29
	v_mac_f32_e32 v3, 0x4f800000, v4
	v_rcp_f32_e32 v3, v3
	v_mul_f32_e32 v3, 0x5f7ffffc, v3
	v_mul_f32_e32 v4, 0x2f800000, v3
	v_trunc_f32_e32 v4, v4
	v_mac_f32_e32 v3, 0xcf800000, v4
	v_cvt_u32_f32_e32 v4, v4
	v_cvt_u32_f32_e32 v3, v3
	v_mul_lo_u32 v6, s0, v4
	v_mul_hi_u32 v9, s0, v3
	v_mul_lo_u32 v11, s1, v3
	v_mul_lo_u32 v10, s0, v3
	v_add_u32_e32 v6, v9, v6
	v_add_u32_e32 v6, v6, v11
	v_mul_hi_u32 v9, v3, v10
	v_mul_lo_u32 v11, v3, v6
	v_mul_hi_u32 v13, v3, v6
	v_mul_hi_u32 v12, v4, v10
	v_mul_lo_u32 v10, v4, v10
	v_mul_hi_u32 v14, v4, v6
	v_add_co_u32_e32 v9, vcc, v9, v11
	v_addc_co_u32_e32 v11, vcc, 0, v13, vcc
	v_mul_lo_u32 v6, v4, v6
	v_add_co_u32_e32 v9, vcc, v9, v10
	v_addc_co_u32_e32 v9, vcc, v11, v12, vcc
	v_addc_co_u32_e32 v10, vcc, 0, v14, vcc
	v_add_co_u32_e32 v6, vcc, v9, v6
	v_addc_co_u32_e32 v9, vcc, 0, v10, vcc
	v_add_co_u32_e32 v3, vcc, v3, v6
	v_addc_co_u32_e32 v4, vcc, v4, v9, vcc
	v_mul_lo_u32 v6, s0, v4
	v_mul_hi_u32 v9, s0, v3
	v_mul_lo_u32 v10, s1, v3
	v_mul_lo_u32 v11, s0, v3
	v_add_u32_e32 v6, v9, v6
	v_add_u32_e32 v6, v6, v10
	v_mul_lo_u32 v12, v3, v6
	v_mul_hi_u32 v13, v3, v11
	v_mul_hi_u32 v14, v3, v6
	;; [unrolled: 1-line block ×3, first 2 shown]
	v_mul_lo_u32 v11, v4, v11
	v_mul_hi_u32 v9, v4, v6
	v_add_co_u32_e32 v12, vcc, v13, v12
	v_addc_co_u32_e32 v13, vcc, 0, v14, vcc
	v_mul_lo_u32 v6, v4, v6
	v_add_co_u32_e32 v11, vcc, v12, v11
	v_addc_co_u32_e32 v10, vcc, v13, v10, vcc
	v_addc_co_u32_e32 v9, vcc, 0, v9, vcc
	v_add_co_u32_e32 v6, vcc, v10, v6
	v_addc_co_u32_e32 v9, vcc, 0, v9, vcc
	v_add_co_u32_e32 v6, vcc, v3, v6
	v_addc_co_u32_e32 v9, vcc, v4, v9, vcc
	v_mad_u64_u32 v[3:4], s[0:1], v7, v9, 0
	v_mul_hi_u32 v10, v7, v6
	v_add_co_u32_e32 v11, vcc, v10, v3
	v_addc_co_u32_e32 v12, vcc, 0, v4, vcc
	v_mad_u64_u32 v[3:4], s[0:1], v8, v6, 0
	v_mad_u64_u32 v[9:10], s[0:1], v8, v9, 0
	v_add_co_u32_e32 v3, vcc, v11, v3
	v_addc_co_u32_e32 v3, vcc, v12, v4, vcc
	v_addc_co_u32_e32 v4, vcc, 0, v10, vcc
	v_add_co_u32_e32 v6, vcc, v3, v9
	v_addc_co_u32_e32 v9, vcc, 0, v4, vcc
	v_mul_lo_u32 v10, s29, v6
	v_mul_lo_u32 v11, s28, v9
	v_mad_u64_u32 v[3:4], s[0:1], s28, v6, 0
	v_add3_u32 v4, v4, v11, v10
	v_sub_u32_e32 v10, v8, v4
	v_mov_b32_e32 v11, s29
	v_sub_co_u32_e32 v3, vcc, v7, v3
	v_subb_co_u32_e64 v10, s[0:1], v10, v11, vcc
	v_subrev_co_u32_e64 v11, s[0:1], s28, v3
	v_subbrev_co_u32_e64 v10, s[0:1], 0, v10, s[0:1]
	v_cmp_le_u32_e64 s[0:1], s29, v10
	v_cndmask_b32_e64 v12, 0, -1, s[0:1]
	v_cmp_le_u32_e64 s[0:1], s28, v11
	v_cndmask_b32_e64 v11, 0, -1, s[0:1]
	v_cmp_eq_u32_e64 s[0:1], s29, v10
	v_cndmask_b32_e64 v10, v12, v11, s[0:1]
	v_add_co_u32_e64 v11, s[0:1], 2, v6
	v_addc_co_u32_e64 v12, s[0:1], 0, v9, s[0:1]
	v_add_co_u32_e64 v13, s[0:1], 1, v6
	v_addc_co_u32_e64 v14, s[0:1], 0, v9, s[0:1]
	v_subb_co_u32_e32 v4, vcc, v8, v4, vcc
	v_cmp_ne_u32_e64 s[0:1], 0, v10
	v_cmp_le_u32_e32 vcc, s29, v4
	v_cndmask_b32_e64 v10, v14, v12, s[0:1]
	v_cndmask_b32_e64 v12, 0, -1, vcc
	v_cmp_le_u32_e32 vcc, s28, v3
	v_cndmask_b32_e64 v3, 0, -1, vcc
	v_cmp_eq_u32_e32 vcc, s29, v4
	v_cndmask_b32_e32 v3, v12, v3, vcc
	v_cmp_ne_u32_e32 vcc, 0, v3
	v_cndmask_b32_e64 v3, v13, v11, s[0:1]
	v_cndmask_b32_e32 v4, v9, v10, vcc
	v_cndmask_b32_e32 v3, v6, v3, vcc
.LBB0_4:                                ;   in Loop: Header=BB0_2 Depth=1
	s_andn2_saveexec_b64 s[0:1], s[30:31]
	s_cbranch_execz .LBB0_6
; %bb.5:                                ;   in Loop: Header=BB0_2 Depth=1
	v_cvt_f32_u32_e32 v3, s28
	s_sub_i32 s30, 0, s28
	v_rcp_iflag_f32_e32 v3, v3
	v_mul_f32_e32 v3, 0x4f7ffffe, v3
	v_cvt_u32_f32_e32 v3, v3
	v_mul_lo_u32 v4, s30, v3
	v_mul_hi_u32 v4, v3, v4
	v_add_u32_e32 v3, v3, v4
	v_mul_hi_u32 v3, v7, v3
	v_mul_lo_u32 v4, v3, s28
	v_add_u32_e32 v6, 1, v3
	v_sub_u32_e32 v4, v7, v4
	v_subrev_u32_e32 v9, s28, v4
	v_cmp_le_u32_e32 vcc, s28, v4
	v_cndmask_b32_e32 v4, v4, v9, vcc
	v_cndmask_b32_e32 v3, v3, v6, vcc
	v_add_u32_e32 v6, 1, v3
	v_cmp_le_u32_e32 vcc, s28, v4
	v_cndmask_b32_e32 v3, v3, v6, vcc
	v_mov_b32_e32 v4, v5
.LBB0_6:                                ;   in Loop: Header=BB0_2 Depth=1
	s_or_b64 exec, exec, s[0:1]
	v_mul_lo_u32 v6, v4, s28
	v_mul_lo_u32 v11, v3, s29
	v_mad_u64_u32 v[9:10], s[0:1], v3, s28, 0
	s_load_dwordx2 s[0:1], s[22:23], 0x0
	s_load_dwordx2 s[28:29], s[6:7], 0x0
	v_add3_u32 v6, v10, v11, v6
	v_sub_co_u32_e32 v7, vcc, v7, v9
	v_subb_co_u32_e32 v6, vcc, v8, v6, vcc
	s_waitcnt lgkmcnt(0)
	v_mul_lo_u32 v8, s0, v6
	v_mul_lo_u32 v9, s1, v7
	v_mad_u64_u32 v[31:32], s[0:1], s0, v7, v[31:32]
	v_mul_lo_u32 v6, s28, v6
	v_mul_lo_u32 v10, s29, v7
	v_mad_u64_u32 v[1:2], s[0:1], s28, v7, v[1:2]
	s_add_u32 s26, s26, 1
	s_addc_u32 s27, s27, 0
	s_add_u32 s6, s6, 8
	v_add3_u32 v2, v10, v2, v6
	s_addc_u32 s7, s7, 0
	v_mov_b32_e32 v6, s14
	s_add_u32 s22, s22, 8
	v_mov_b32_e32 v7, s15
	s_addc_u32 s23, s23, 0
	v_cmp_ge_u64_e32 vcc, s[26:27], v[6:7]
	s_add_u32 s24, s24, 8
	v_add3_u32 v32, v9, v32, v8
	s_addc_u32 s25, s25, 0
	s_cbranch_vccnz .LBB0_9
; %bb.7:                                ;   in Loop: Header=BB0_2 Depth=1
	v_mov_b32_e32 v8, v4
	v_mov_b32_e32 v7, v3
	s_branch .LBB0_2
.LBB0_8:
	v_mov_b32_e32 v1, v31
	v_mov_b32_e32 v3, v7
	;; [unrolled: 1-line block ×4, first 2 shown]
.LBB0_9:
	s_lshl_b64 s[22:23], s[14:15], 3
	s_load_dwordx2 s[0:1], s[4:5], 0x28
	s_add_u32 s4, s18, s22
	s_mov_b32 s5, 0x2d02d03
	v_mul_hi_u32 v5, v0, s5
	s_addc_u32 s5, s19, s23
	s_load_dwordx2 s[4:5], s[4:5], 0x0
	s_waitcnt lgkmcnt(0)
	v_cmp_gt_u64_e32 vcc, s[0:1], v[3:4]
	v_mul_u32_u24_e32 v5, 0x5b, v5
	v_sub_u32_e32 v49, v0, v5
	v_mov_b32_e32 v6, 0
	v_mov_b32_e32 v0, 0
	v_mov_b32_e32 v5, 0
                                        ; implicit-def: $vgpr24
                                        ; implicit-def: $vgpr26
                                        ; implicit-def: $vgpr28
                                        ; implicit-def: $vgpr30
                                        ; implicit-def: $vgpr8
                                        ; implicit-def: $vgpr10
                                        ; implicit-def: $vgpr12
                                        ; implicit-def: $vgpr14
                                        ; implicit-def: $vgpr16
                                        ; implicit-def: $vgpr20
                                        ; implicit-def: $vgpr22
                                        ; implicit-def: $vgpr18
	s_and_saveexec_b64 s[6:7], vcc
	s_cbranch_execz .LBB0_13
; %bb.10:
	s_movk_i32 s0, 0x4d
	v_cmp_gt_u32_e64 s[0:1], s0, v49
	v_mov_b32_e32 v5, 0
	v_mov_b32_e32 v6, 0
                                        ; implicit-def: $vgpr17
                                        ; implicit-def: $vgpr21
                                        ; implicit-def: $vgpr19
                                        ; implicit-def: $vgpr15
                                        ; implicit-def: $vgpr13
                                        ; implicit-def: $vgpr11
                                        ; implicit-def: $vgpr9
                                        ; implicit-def: $vgpr7
                                        ; implicit-def: $vgpr29
                                        ; implicit-def: $vgpr27
                                        ; implicit-def: $vgpr25
                                        ; implicit-def: $vgpr23
	s_and_saveexec_b64 s[14:15], s[0:1]
	s_cbranch_execz .LBB0_12
; %bb.11:
	s_add_u32 s0, s16, s22
	s_addc_u32 s1, s17, s23
	s_load_dwordx2 s[0:1], s[0:1], 0x0
	v_mad_u64_u32 v[5:6], s[16:17], s2, v49, 0
	v_mov_b32_e32 v0, v6
	s_waitcnt lgkmcnt(0)
	v_mul_lo_u32 v11, s1, v3
	v_mul_lo_u32 v12, s0, v4
	v_mad_u64_u32 v[7:8], s[0:1], s0, v3, 0
	v_mad_u64_u32 v[9:10], s[0:1], s3, v49, v[0:1]
	v_add3_u32 v8, v8, v12, v11
	v_lshlrev_b64 v[7:8], 3, v[7:8]
	v_mov_b32_e32 v0, s9
	v_add_co_u32_e64 v11, s[0:1], s8, v7
	v_add_u32_e32 v12, 0x4d, v49
	v_mov_b32_e32 v6, v9
	v_addc_co_u32_e64 v0, s[0:1], v0, v8, s[0:1]
	v_mad_u64_u32 v[9:10], s[0:1], s2, v12, 0
	v_lshlrev_b64 v[7:8], 3, v[31:32]
	v_lshlrev_b64 v[5:6], 3, v[5:6]
	v_add_co_u32_e64 v13, s[0:1], v11, v7
	v_addc_co_u32_e64 v14, s[0:1], v0, v8, s[0:1]
	v_mov_b32_e32 v0, v10
	v_mad_u64_u32 v[7:8], s[0:1], s3, v12, v[0:1]
	v_add_u32_e32 v8, 0x9a, v49
	v_mad_u64_u32 v[11:12], s[0:1], s2, v8, 0
	v_add_co_u32_e64 v31, s[0:1], v13, v5
	v_mov_b32_e32 v10, v7
	v_mov_b32_e32 v0, v12
	v_addc_co_u32_e64 v32, s[0:1], v14, v6, s[0:1]
	v_lshlrev_b64 v[5:6], 3, v[9:10]
	v_mad_u64_u32 v[7:8], s[0:1], s3, v8, v[0:1]
	v_add_u32_e32 v10, 0xe7, v49
	v_mad_u64_u32 v[8:9], s[0:1], s2, v10, 0
	v_add_co_u32_e64 v33, s[0:1], v13, v5
	v_mov_b32_e32 v0, v9
	v_addc_co_u32_e64 v34, s[0:1], v14, v6, s[0:1]
	v_mov_b32_e32 v12, v7
	v_mad_u64_u32 v[9:10], s[0:1], s3, v10, v[0:1]
	v_add_u32_e32 v7, 0x134, v49
	v_lshlrev_b64 v[5:6], 3, v[11:12]
	v_mad_u64_u32 v[10:11], s[0:1], s2, v7, 0
	v_add_co_u32_e64 v35, s[0:1], v13, v5
	v_mov_b32_e32 v0, v11
	v_addc_co_u32_e64 v36, s[0:1], v14, v6, s[0:1]
	v_lshlrev_b64 v[5:6], 3, v[8:9]
	v_mad_u64_u32 v[7:8], s[0:1], s3, v7, v[0:1]
	v_add_u32_e32 v12, 0x181, v49
	v_mad_u64_u32 v[8:9], s[0:1], s2, v12, 0
	v_add_co_u32_e64 v38, s[0:1], v13, v5
	v_mov_b32_e32 v11, v7
	v_mov_b32_e32 v0, v9
	v_addc_co_u32_e64 v39, s[0:1], v14, v6, s[0:1]
	v_lshlrev_b64 v[5:6], 3, v[10:11]
	v_mad_u64_u32 v[9:10], s[0:1], s3, v12, v[0:1]
	v_add_u32_e32 v7, 0x1ce, v49
	v_mad_u64_u32 v[10:11], s[0:1], s2, v7, 0
	v_add_co_u32_e64 v40, s[0:1], v13, v5
	v_mov_b32_e32 v0, v11
	v_addc_co_u32_e64 v41, s[0:1], v14, v6, s[0:1]
	v_lshlrev_b64 v[5:6], 3, v[8:9]
	v_mad_u64_u32 v[7:8], s[0:1], s3, v7, v[0:1]
	v_add_u32_e32 v12, 0x21b, v49
	v_mad_u64_u32 v[8:9], s[0:1], s2, v12, 0
	v_add_co_u32_e64 v42, s[0:1], v13, v5
	v_mov_b32_e32 v11, v7
	v_mov_b32_e32 v0, v9
	v_addc_co_u32_e64 v43, s[0:1], v14, v6, s[0:1]
	v_lshlrev_b64 v[5:6], 3, v[10:11]
	v_mad_u64_u32 v[9:10], s[0:1], s3, v12, v[0:1]
	v_add_u32_e32 v7, 0x268, v49
	;; [unrolled: 15-line block ×4, first 2 shown]
	v_mad_u64_u32 v[10:11], s[0:1], s2, v7, 0
	v_add_co_u32_e64 v54, s[0:1], v13, v5
	v_mov_b32_e32 v0, v11
	v_addc_co_u32_e64 v55, s[0:1], v14, v6, s[0:1]
	v_lshlrev_b64 v[5:6], 3, v[8:9]
	v_mad_u64_u32 v[7:8], s[0:1], s3, v7, v[0:1]
	v_add_co_u32_e64 v56, s[0:1], v13, v5
	v_mov_b32_e32 v11, v7
	v_addc_co_u32_e64 v57, s[0:1], v14, v6, s[0:1]
	v_lshlrev_b64 v[5:6], 3, v[10:11]
	v_add_co_u32_e64 v58, s[0:1], v13, v5
	v_addc_co_u32_e64 v59, s[0:1], v14, v6, s[0:1]
	global_load_dwordx2 v[5:6], v[31:32], off
	global_load_dwordx2 v[23:24], v[33:34], off
	;; [unrolled: 1-line block ×13, first 2 shown]
.LBB0_12:
	s_or_b64 exec, exec, s[14:15]
	v_mov_b32_e32 v0, v49
.LBB0_13:
	s_or_b64 exec, exec, s[6:7]
	s_waitcnt vmcnt(0)
	v_add_f32_e32 v33, v23, v21
	v_mul_f32_e32 v38, 0x3f62ad3f, v33
	v_add_f32_e32 v34, v25, v19
	v_sub_f32_e32 v45, v24, v22
	v_mov_b32_e32 v31, v38
	v_mul_f32_e32 v39, 0x3f116cb1, v34
	v_fmac_f32_e32 v31, 0xbeedf032, v45
	v_sub_f32_e32 v46, v26, v20
	v_mov_b32_e32 v32, v39
	v_add_f32_e32 v31, v5, v31
	v_fmac_f32_e32 v32, 0xbf52af12, v46
	v_mul_f32_e32 v40, 0x3f116cb1, v33
	v_add_f32_e32 v31, v32, v31
	v_mov_b32_e32 v32, v40
	v_mul_f32_e32 v41, 0xbeb58ec6, v34
	v_fmac_f32_e32 v32, 0xbf52af12, v45
	v_mov_b32_e32 v35, v41
	v_add_f32_e32 v50, v27, v17
	v_add_f32_e32 v32, v5, v32
	v_fmac_f32_e32 v35, 0xbf6f5d39, v46
	v_mul_f32_e32 v42, 0x3df6dbef, v50
	v_add_f32_e32 v32, v35, v32
	v_sub_f32_e32 v51, v28, v18
	v_mov_b32_e32 v35, v42
	v_fmac_f32_e32 v35, 0xbf7e222b, v51
	v_mul_f32_e32 v43, 0xbf788fa5, v50
	v_add_f32_e32 v31, v31, v35
	v_mov_b32_e32 v35, v43
	v_add_f32_e32 v74, v29, v15
	v_fmac_f32_e32 v35, 0xbe750f2a, v51
	v_mul_f32_e32 v44, 0xbeb58ec6, v74
	v_add_f32_e32 v32, v32, v35
	v_sub_f32_e32 v53, v30, v16
	v_mov_b32_e32 v35, v44
	v_fmac_f32_e32 v35, 0xbf6f5d39, v53
	v_mul_f32_e32 v47, 0xbf3f9e67, v74
	v_add_f32_e32 v31, v35, v31
	v_mov_b32_e32 v35, v47
	v_add_f32_e32 v75, v7, v13
	v_fmac_f32_e32 v35, 0x3f29c268, v53
	v_mul_f32_e32 v48, 0xbf3f9e67, v75
	v_add_f32_e32 v32, v35, v32
	v_sub_f32_e32 v55, v8, v14
	v_mov_b32_e32 v35, v48
	v_fmac_f32_e32 v35, 0xbf29c268, v55
	v_mul_f32_e32 v52, 0x3df6dbef, v75
	v_add_f32_e32 v31, v35, v31
	v_mov_b32_e32 v35, v52
	v_add_f32_e32 v81, v9, v11
	v_fmac_f32_e32 v35, 0x3f7e222b, v55
	v_mul_f32_e32 v54, 0xbf788fa5, v81
	v_add_f32_e32 v35, v35, v32
	v_sub_f32_e32 v57, v10, v12
	v_mov_b32_e32 v32, v54
	v_fmac_f32_e32 v32, 0xbe750f2a, v57
	v_mul_f32_e32 v56, 0x3f62ad3f, v81
	v_add_f32_e32 v32, v32, v31
	v_mov_b32_e32 v31, v56
	v_fmac_f32_e32 v31, 0x3eedf032, v57
	v_mul_f32_e32 v58, 0x3df6dbef, v33
	v_add_f32_e32 v31, v31, v35
	v_mov_b32_e32 v35, v58
	v_mul_f32_e32 v59, 0xbf788fa5, v34
	v_fmac_f32_e32 v35, 0xbf7e222b, v45
	v_mov_b32_e32 v36, v59
	v_add_f32_e32 v35, v5, v35
	v_fmac_f32_e32 v36, 0xbe750f2a, v46
	v_mul_f32_e32 v66, 0xbeb58ec6, v33
	v_add_f32_e32 v35, v36, v35
	v_mov_b32_e32 v36, v66
	v_mul_f32_e32 v64, 0xbf3f9e67, v34
	v_fmac_f32_e32 v36, 0xbf6f5d39, v45
	v_mov_b32_e32 v60, v64
	v_add_f32_e32 v36, v5, v36
	v_fmac_f32_e32 v60, 0x3f29c268, v46
	v_add_f32_e32 v36, v60, v36
	v_mul_f32_e32 v60, 0xbeb58ec6, v50
	v_mov_b32_e32 v61, v60
	v_fmac_f32_e32 v61, 0x3f6f5d39, v51
	v_mul_f32_e32 v65, 0x3f62ad3f, v50
	v_add_f32_e32 v35, v35, v61
	v_mov_b32_e32 v61, v65
	v_fmac_f32_e32 v61, 0x3eedf032, v51
	v_add_f32_e32 v36, v36, v61
	v_mul_f32_e32 v61, 0x3f62ad3f, v74
	v_mov_b32_e32 v62, v61
	v_fmac_f32_e32 v62, 0x3eedf032, v53
	v_mul_f32_e32 v67, 0x3df6dbef, v74
	v_add_f32_e32 v35, v62, v35
	v_mov_b32_e32 v62, v67
	v_fmac_f32_e32 v62, 0xbf7e222b, v53
	v_add_f32_e32 v36, v62, v36
	v_mul_f32_e32 v62, 0x3f116cb1, v75
	v_mov_b32_e32 v63, v62
	v_fmac_f32_e32 v63, 0xbf52af12, v55
	v_mul_f32_e32 v68, 0xbf788fa5, v75
	v_add_f32_e32 v35, v63, v35
	v_mov_b32_e32 v63, v68
	v_fmac_f32_e32 v63, 0x3e750f2a, v55
	v_add_f32_e32 v70, v63, v36
	v_mul_f32_e32 v63, 0xbf3f9e67, v81
	v_mov_b32_e32 v36, v63
	v_fmac_f32_e32 v36, 0xbf29c268, v57
	v_mul_f32_e32 v69, 0x3f116cb1, v81
	v_add_f32_e32 v36, v36, v35
	v_mov_b32_e32 v35, v69
	v_fmac_f32_e32 v35, 0x3f52af12, v57
	v_add_f32_e32 v35, v35, v70
	v_mul_f32_e32 v70, 0xbf3f9e67, v33
	v_mov_b32_e32 v71, v70
	v_fmac_f32_e32 v71, 0xbf29c268, v45
	v_add_f32_e32 v72, v5, v71
	v_mul_f32_e32 v71, 0x3df6dbef, v34
	v_mul_f32_e32 v76, 0xbf788fa5, v33
	v_mov_b32_e32 v73, v71
	v_mov_b32_e32 v33, v76
	v_mul_f32_e32 v77, 0x3f62ad3f, v34
	v_fmac_f32_e32 v73, 0x3f7e222b, v46
	v_fmac_f32_e32 v33, 0xbe750f2a, v45
	v_mov_b32_e32 v34, v77
	v_add_f32_e32 v73, v73, v72
	v_add_f32_e32 v33, v5, v33
	v_fmac_f32_e32 v34, 0x3eedf032, v46
	v_mul_f32_e32 v72, 0x3f116cb1, v50
	v_add_f32_e32 v33, v34, v33
	v_mov_b32_e32 v34, v72
	v_mul_f32_e32 v78, 0xbf3f9e67, v50
	v_fmac_f32_e32 v34, 0xbf52af12, v51
	v_mov_b32_e32 v50, v78
	v_add_f32_e32 v34, v73, v34
	v_fmac_f32_e32 v50, 0xbf29c268, v51
	v_mul_f32_e32 v73, 0xbf788fa5, v74
	v_add_f32_e32 v33, v33, v50
	v_mov_b32_e32 v50, v73
	v_fmac_f32_e32 v50, 0x3e750f2a, v53
	v_mul_f32_e32 v79, 0x3f116cb1, v74
	v_add_f32_e32 v34, v50, v34
	v_mov_b32_e32 v50, v79
	v_fmac_f32_e32 v50, 0x3f52af12, v53
	v_mul_f32_e32 v74, 0x3f62ad3f, v75
	v_add_f32_e32 v33, v50, v33
	v_mov_b32_e32 v50, v74
	v_fmac_f32_e32 v50, 0x3eedf032, v55
	v_mul_f32_e32 v80, 0xbeb58ec6, v75
	v_add_f32_e32 v34, v50, v34
	v_mov_b32_e32 v50, v80
	v_fmac_f32_e32 v50, 0xbf6f5d39, v55
	v_mul_f32_e32 v75, 0xbeb58ec6, v81
	v_add_f32_e32 v33, v50, v33
	v_mov_b32_e32 v50, v75
	v_fmac_f32_e32 v50, 0xbf6f5d39, v57
	v_mul_f32_e32 v81, 0x3df6dbef, v81
	v_add_f32_e32 v34, v50, v34
	v_mov_b32_e32 v50, v81
	v_fmac_f32_e32 v50, 0x3f7e222b, v57
	v_and_b32_e32 v37, 1, v37
	v_add_f32_e32 v33, v50, v33
	v_mov_b32_e32 v50, 0x3e9
	v_cmp_eq_u32_e64 s[0:1], 1, v37
	v_cndmask_b32_e64 v37, 0, v50, s[0:1]
	s_movk_i32 s0, 0x4d
	v_cmp_gt_u32_e64 s[2:3], s0, v49
	v_lshlrev_b32_e32 v50, 2, v37
	s_and_saveexec_b64 s[0:1], s[2:3]
	s_cbranch_execz .LBB0_15
; %bb.14:
	v_mul_f32_e32 v37, 0xbe750f2a, v45
	v_sub_f32_e32 v37, v76, v37
	v_mul_f32_e32 v76, 0x3eedf032, v46
	v_sub_f32_e32 v76, v77, v76
	v_add_f32_e32 v37, v5, v37
	v_add_f32_e32 v37, v76, v37
	v_mul_f32_e32 v76, 0xbf29c268, v51
	v_sub_f32_e32 v76, v78, v76
	v_add_f32_e32 v37, v37, v76
	v_mul_f32_e32 v76, 0x3f52af12, v53
	v_sub_f32_e32 v76, v79, v76
	;; [unrolled: 3-line block ×5, first 2 shown]
	v_mul_f32_e32 v76, 0x3f7e222b, v46
	v_sub_f32_e32 v71, v71, v76
	v_add_f32_e32 v70, v5, v70
	v_add_f32_e32 v70, v71, v70
	v_mul_f32_e32 v71, 0xbf52af12, v51
	v_sub_f32_e32 v71, v72, v71
	v_add_f32_e32 v70, v70, v71
	v_mul_f32_e32 v71, 0x3e750f2a, v53
	v_sub_f32_e32 v71, v73, v71
	v_add_f32_e32 v70, v71, v70
	v_mul_f32_e32 v71, 0x3eedf032, v55
	v_mul_f32_e32 v77, 0xbeedf032, v45
	;; [unrolled: 1-line block ×5, first 2 shown]
	v_sub_f32_e32 v71, v74, v71
	v_add_f32_e32 v70, v71, v70
	v_mul_f32_e32 v71, 0xbf6f5d39, v57
	v_sub_f32_e32 v45, v66, v45
	v_sub_f32_e32 v58, v58, v72
	;; [unrolled: 1-line block ×4, first 2 shown]
	v_mul_f32_e32 v73, 0xbf52af12, v46
	v_mul_f32_e32 v74, 0xbf6f5d39, v46
	v_sub_f32_e32 v71, v75, v71
	v_mul_f32_e32 v75, 0xbe750f2a, v46
	v_mul_f32_e32 v46, 0x3f29c268, v46
	v_add_f32_e32 v45, v5, v45
	v_add_f32_e32 v58, v5, v58
	;; [unrolled: 1-line block ×6, first 2 shown]
	v_mul_f32_e32 v71, 0xbf7e222b, v51
	v_mul_f32_e32 v66, 0xbe750f2a, v51
	v_sub_f32_e32 v46, v64, v46
	v_mul_f32_e32 v64, 0x3f6f5d39, v51
	v_mul_f32_e32 v51, 0x3eedf032, v51
	v_add_f32_e32 v5, v5, v25
	v_add_f32_e32 v45, v46, v45
	v_sub_f32_e32 v51, v65, v51
	v_add_f32_e32 v5, v5, v27
	v_mul_f32_e32 v46, 0xbf6f5d39, v53
	v_mul_f32_e32 v65, 0x3f29c268, v53
	v_add_f32_e32 v45, v45, v51
	v_mul_f32_e32 v51, 0x3eedf032, v53
	v_mul_f32_e32 v53, 0xbf7e222b, v53
	v_add_f32_e32 v5, v5, v29
	v_sub_f32_e32 v53, v67, v53
	v_add_f32_e32 v5, v5, v7
	v_add_f32_e32 v45, v53, v45
	v_mul_f32_e32 v53, 0x3e750f2a, v55
	v_sub_f32_e32 v39, v39, v73
	v_add_f32_e32 v5, v5, v9
	v_sub_f32_e32 v53, v68, v53
	v_add_f32_e32 v38, v39, v38
	v_sub_f32_e32 v39, v42, v71
	v_add_f32_e32 v5, v5, v11
	v_mul_f32_e32 v67, 0xbf29c268, v55
	v_add_f32_e32 v45, v53, v45
	v_mul_f32_e32 v53, 0x3f52af12, v57
	v_sub_f32_e32 v59, v59, v75
	v_sub_f32_e32 v41, v41, v74
	v_add_f32_e32 v38, v38, v39
	v_sub_f32_e32 v39, v44, v46
	v_add_f32_e32 v5, v5, v13
	v_sub_f32_e32 v53, v69, v53
	v_mul_f32_e32 v69, 0xbe750f2a, v57
	v_add_f32_e32 v58, v59, v58
	v_sub_f32_e32 v59, v60, v64
	v_add_f32_e32 v40, v41, v40
	v_sub_f32_e32 v41, v43, v66
	;; [unrolled: 2-line block ×3, first 2 shown]
	v_add_f32_e32 v5, v5, v15
	v_mul_f32_e32 v68, 0x3f7e222b, v55
	v_mul_f32_e32 v55, 0xbf52af12, v55
	v_add_f32_e32 v58, v58, v59
	v_sub_f32_e32 v51, v61, v51
	v_add_f32_e32 v40, v40, v41
	v_sub_f32_e32 v41, v47, v65
	;; [unrolled: 2-line block ×3, first 2 shown]
	v_add_f32_e32 v5, v5, v17
	v_add_f32_e32 v45, v53, v45
	v_mul_f32_e32 v53, 0x3eedf032, v57
	v_mul_f32_e32 v57, 0xbf29c268, v57
	v_add_f32_e32 v51, v51, v58
	v_sub_f32_e32 v55, v62, v55
	v_add_f32_e32 v40, v41, v40
	v_sub_f32_e32 v41, v52, v68
	v_add_f32_e32 v38, v39, v38
	v_add_f32_e32 v5, v19, v5
	v_mul_u32_u24_e32 v39, 52, v49
	v_add_f32_e32 v51, v55, v51
	v_sub_f32_e32 v55, v63, v57
	v_add_f32_e32 v40, v41, v40
	v_sub_f32_e32 v41, v56, v53
	v_add_f32_e32 v5, v21, v5
	v_add3_u32 v39, 0, v39, v50
	v_add_f32_e32 v51, v55, v51
	v_add_f32_e32 v40, v41, v40
	ds_write2_b32 v39, v5, v38 offset1:1
	ds_write2_b32 v39, v40, v51 offset0:2 offset1:3
	ds_write2_b32 v39, v45, v70 offset0:4 offset1:5
	;; [unrolled: 1-line block ×5, first 2 shown]
	ds_write_b32 v39, v32 offset:48
.LBB0_15:
	s_or_b64 exec, exec, s[0:1]
	v_lshlrev_b32_e32 v5, 2, v49
	v_add3_u32 v52, 0, v50, v5
	v_add_u32_e32 v5, 0, v5
	v_add_u32_e32 v51, v5, v50
	;; [unrolled: 1-line block ×3, first 2 shown]
	s_waitcnt lgkmcnt(0)
	s_barrier
	ds_read2_b32 v[43:44], v37 offset0:15 offset1:158
	v_add_u32_e32 v37, 0x600, v51
	ds_read2_b32 v[41:42], v37 offset0:45 offset1:188
	v_add_u32_e32 v37, 0xa00, v51
	ds_read_b32 v53, v52
	ds_read2_b32 v[39:40], v37 offset0:75 offset1:218
	v_cmp_gt_u32_e64 s[0:1], 52, v49
                                        ; implicit-def: $vgpr54
	s_and_saveexec_b64 s[6:7], s[0:1]
	s_cbranch_execz .LBB0_17
; %bb.16:
	v_add_u32_e32 v31, 0x500, v51
	ds_read2_b32 v[33:34], v51 offset0:91 offset1:234
	ds_read2_b32 v[35:36], v31 offset0:57 offset1:200
	ds_read2_b32 v[31:32], v37 offset0:23 offset1:166
	ds_read_b32 v54, v51 offset:3796
.LBB0_17:
	s_or_b64 exec, exec, s[6:7]
	v_sub_f32_e32 v37, v23, v21
	v_add_f32_e32 v71, v24, v22
	s_mov_b32 s6, 0x3f62ad3f
	v_mul_f32_e32 v21, 0xbeedf032, v37
	v_sub_f32_e32 v62, v25, v19
	v_fma_f32 v23, v71, s6, -v21
	s_mov_b32 s7, 0x3f116cb1
	v_add_f32_e32 v74, v26, v20
	v_mul_f32_e32 v19, 0xbf52af12, v62
	v_add_f32_e32 v38, v6, v23
	v_mul_f32_e32 v23, 0xbf52af12, v37
	v_fma_f32 v25, v74, s7, -v19
	v_fma_f32 v45, v71, s7, -v23
	s_mov_b32 s9, 0xbeb58ec6
	v_add_f32_e32 v38, v25, v38
	v_mul_f32_e32 v25, 0xbf6f5d39, v62
	v_add_f32_e32 v45, v6, v45
	s_mov_b32 s8, 0x3df6dbef
	v_mul_f32_e32 v55, 0xbf7e222b, v37
	v_fma_f32 v59, v74, s9, -v25
	v_fma_f32 v46, v71, s8, -v55
	s_mov_b32 s15, 0xbf788fa5
	v_add_f32_e32 v45, v59, v45
	v_mul_f32_e32 v59, 0xbe750f2a, v62
	v_add_f32_e32 v46, v6, v46
	v_mul_f32_e32 v56, 0xbf6f5d39, v37
	v_fma_f32 v60, v74, s15, -v59
	v_fma_f32 v47, v71, s9, -v56
	s_mov_b32 s14, 0xbf3f9e67
	v_add_f32_e32 v46, v60, v46
	v_mul_f32_e32 v60, 0x3f29c268, v62
	v_add_f32_e32 v47, v6, v47
	v_mul_f32_e32 v57, 0xbf29c268, v37
	v_fma_f32 v61, v74, s14, -v60
	v_sub_f32_e32 v66, v27, v17
	v_fma_f32 v48, v71, s14, -v57
	v_mul_f32_e32 v58, 0xbe750f2a, v37
	v_add_f32_e32 v47, v61, v47
	v_mul_f32_e32 v61, 0x3f7e222b, v62
	v_add_f32_e32 v81, v28, v18
	;; [unrolled: 2-line block ×3, first 2 shown]
	v_fma_f32 v37, v71, s15, -v58
	v_fma_f32 v63, v74, s8, -v61
	v_mul_f32_e32 v62, 0x3eedf032, v62
	v_fma_f32 v27, v81, s8, -v17
	v_add_f32_e32 v37, v6, v37
	v_add_f32_e32 v48, v63, v48
	v_fma_f32 v63, v74, s6, -v62
	v_add_f32_e32 v38, v38, v27
	v_mul_f32_e32 v27, 0xbe750f2a, v66
	v_add_f32_e32 v37, v63, v37
	v_fma_f32 v63, v81, s15, -v27
	v_add_f32_e32 v45, v45, v63
	v_mul_f32_e32 v63, 0x3f6f5d39, v66
	v_fma_f32 v64, v81, s9, -v63
	v_add_f32_e32 v46, v46, v64
	v_mul_f32_e32 v64, 0x3eedf032, v66
	v_fma_f32 v65, v81, s6, -v64
	v_sub_f32_e32 v76, v29, v15
	v_add_f32_e32 v47, v47, v65
	v_mul_f32_e32 v65, 0xbf52af12, v66
	v_add_f32_e32 v82, v30, v16
	v_mul_f32_e32 v15, 0xbf6f5d39, v76
	v_fma_f32 v67, v81, s7, -v65
	v_mul_f32_e32 v66, 0xbf29c268, v66
	v_fma_f32 v29, v82, s9, -v15
	v_add_f32_e32 v75, v48, v67
	v_fma_f32 v48, v81, s14, -v66
	v_add_f32_e32 v38, v29, v38
	v_mul_f32_e32 v29, 0x3f29c268, v76
	v_sub_f32_e32 v78, v7, v13
	v_add_f32_e32 v37, v37, v48
	v_fma_f32 v48, v82, s14, -v29
	v_mul_f32_e32 v67, 0x3eedf032, v76
	v_add_f32_e32 v83, v8, v14
	v_mul_f32_e32 v7, 0xbf29c268, v78
	v_add_f32_e32 v45, v48, v45
	v_fma_f32 v48, v82, s6, -v67
	v_mul_f32_e32 v68, 0xbf7e222b, v76
	v_fma_f32 v13, v83, s14, -v7
	v_add_f32_e32 v46, v48, v46
	v_fma_f32 v48, v82, s8, -v68
	v_add_f32_e32 v38, v13, v38
	v_mul_f32_e32 v13, 0x3f7e222b, v78
	v_add_f32_e32 v47, v48, v47
	v_fma_f32 v48, v83, s8, -v13
	v_mul_f32_e32 v69, 0xbf52af12, v78
	v_sub_f32_e32 v85, v9, v11
	v_add_f32_e32 v45, v48, v45
	v_fma_f32 v48, v83, s7, -v69
	v_mul_f32_e32 v70, 0x3e750f2a, v78
	v_add_f32_e32 v84, v10, v12
	v_mul_f32_e32 v9, 0xbe750f2a, v85
	v_add_f32_e32 v48, v48, v46
	v_fma_f32 v46, v83, s15, -v70
	v_fma_f32 v11, v84, s15, -v9
	v_add_f32_e32 v47, v46, v47
	v_add_f32_e32 v46, v11, v38
	v_mul_f32_e32 v11, 0x3eedf032, v85
	v_fma_f32 v38, v84, s6, -v11
	v_mul_f32_e32 v72, 0xbf29c268, v85
	v_add_f32_e32 v45, v38, v45
	v_fma_f32 v38, v84, s14, -v72
	v_mul_f32_e32 v73, 0x3f52af12, v85
	v_add_f32_e32 v48, v38, v48
	v_fma_f32 v38, v84, s7, -v73
	v_mul_f32_e32 v79, 0x3e750f2a, v76
	v_add_f32_e32 v47, v38, v47
	v_fma_f32 v38, v82, s15, -v79
	v_mul_f32_e32 v80, 0x3f52af12, v76
	v_add_f32_e32 v38, v38, v75
	v_fma_f32 v75, v82, s7, -v80
	v_mul_f32_e32 v77, 0x3eedf032, v78
	v_add_f32_e32 v37, v75, v37
	v_fma_f32 v75, v83, s6, -v77
	v_mul_f32_e32 v78, 0xbf6f5d39, v78
	v_add_f32_e32 v38, v75, v38
	v_fma_f32 v75, v83, s9, -v78
	v_add_f32_e32 v37, v75, v37
	v_mul_f32_e32 v75, 0xbf6f5d39, v85
	v_fma_f32 v76, v84, s9, -v75
	v_add_f32_e32 v38, v76, v38
	v_mul_f32_e32 v76, 0x3f7e222b, v85
	v_fma_f32 v85, v84, s8, -v76
	v_add_f32_e32 v37, v85, v37
	s_waitcnt lgkmcnt(0)
	s_barrier
	s_and_saveexec_b64 s[6:7], s[2:3]
	s_cbranch_execz .LBB0_19
; %bb.18:
	v_add_f32_e32 v24, v6, v24
	v_add_f32_e32 v24, v24, v26
	;; [unrolled: 1-line block ×4, first 2 shown]
	v_mul_f32_e32 v85, 0x3f62ad3f, v71
	v_add_f32_e32 v8, v24, v8
	v_mul_f32_e32 v86, 0x3f116cb1, v71
	v_mul_f32_e32 v90, 0x3f116cb1, v74
	v_add_f32_e32 v8, v8, v10
	v_add_f32_e32 v10, v85, v21
	v_mul_f32_e32 v87, 0x3df6dbef, v71
	v_mul_f32_e32 v91, 0xbeb58ec6, v74
	;; [unrolled: 1-line block ×3, first 2 shown]
	v_add_f32_e32 v8, v8, v12
	v_add_f32_e32 v10, v6, v10
	;; [unrolled: 1-line block ×4, first 2 shown]
	v_mul_f32_e32 v88, 0xbeb58ec6, v71
	v_mul_f32_e32 v92, 0xbf788fa5, v74
	;; [unrolled: 1-line block ×4, first 2 shown]
	v_add_f32_e32 v8, v8, v14
	v_add_f32_e32 v12, v6, v12
	;; [unrolled: 1-line block ×6, first 2 shown]
	v_mul_f32_e32 v89, 0xbf3f9e67, v71
	v_mul_f32_e32 v93, 0xbf3f9e67, v74
	;; [unrolled: 1-line block ×4, first 2 shown]
	v_add_f32_e32 v8, v8, v16
	v_add_f32_e32 v14, v6, v14
	;; [unrolled: 1-line block ×8, first 2 shown]
	v_mul_f32_e32 v71, 0xbf788fa5, v71
	v_mul_f32_e32 v94, 0x3df6dbef, v74
	;; [unrolled: 1-line block ×4, first 2 shown]
	v_add_f32_e32 v8, v8, v18
	v_add_f32_e32 v16, v6, v16
	;; [unrolled: 1-line block ×9, first 2 shown]
	v_mul_f32_e32 v74, 0x3f62ad3f, v74
	v_mul_f32_e32 v99, 0x3f116cb1, v81
	;; [unrolled: 1-line block ×3, first 2 shown]
	v_add_f32_e32 v8, v20, v8
	v_add_f32_e32 v18, v6, v18
	;; [unrolled: 1-line block ×9, first 2 shown]
	v_mul_f32_e32 v81, 0xbf3f9e67, v81
	v_mul_f32_e32 v104, 0xbf788fa5, v82
	v_mul_f32_e32 v105, 0xbf3f9e67, v83
	v_add_f32_e32 v6, v6, v20
	v_add_f32_e32 v18, v19, v18
	;; [unrolled: 1-line block ×7, first 2 shown]
	v_mul_f32_e32 v82, 0x3f116cb1, v82
	v_mul_f32_e32 v106, 0x3df6dbef, v83
	;; [unrolled: 1-line block ×4, first 2 shown]
	v_add_f32_e32 v6, v19, v6
	v_add_f32_e32 v17, v18, v17
	v_add_f32_e32 v18, v81, v66
	v_add_f32_e32 v15, v15, v16
	v_add_f32_e32 v16, v104, v79
	v_add_f32_e32 v7, v105, v7
	v_mul_f32_e32 v107, 0x3f116cb1, v83
	v_mul_f32_e32 v109, 0x3f62ad3f, v83
	;; [unrolled: 1-line block ×5, first 2 shown]
	v_add_f32_e32 v6, v6, v18
	v_add_f32_e32 v16, v16, v17
	;; [unrolled: 1-line block ×7, first 2 shown]
	v_mul_f32_e32 v112, 0xbf3f9e67, v84
	v_mul_f32_e32 v114, 0xbeb58ec6, v84
	;; [unrolled: 1-line block ×3, first 2 shown]
	v_add_f32_e32 v6, v17, v6
	v_add_f32_e32 v13, v13, v15
	;; [unrolled: 1-line block ×16, first 2 shown]
	v_mul_u32_u24_e32 v13, 48, v49
	v_add_f32_e32 v8, v22, v8
	v_add_f32_e32 v14, v14, v16
	;; [unrolled: 1-line block ×4, first 2 shown]
	v_add3_u32 v5, v5, v13, v50
	v_add_f32_e32 v12, v12, v14
	ds_write2_b32 v5, v8, v7 offset1:1
	ds_write2_b32 v5, v9, v10 offset0:2 offset1:3
	ds_write2_b32 v5, v11, v12 offset0:4 offset1:5
	;; [unrolled: 1-line block ×5, first 2 shown]
	ds_write_b32 v5, v46 offset:48
.LBB0_19:
	s_or_b64 exec, exec, s[6:7]
	v_add_u32_e32 v5, 0x200, v51
	s_waitcnt lgkmcnt(0)
	s_barrier
	ds_read2_b32 v[9:10], v5 offset0:15 offset1:158
	v_add_u32_e32 v5, 0x600, v51
	v_add_u32_e32 v13, 0xa00, v51
	ds_read_b32 v11, v52
	ds_read2_b32 v[7:8], v5 offset0:45 offset1:188
	ds_read2_b32 v[5:6], v13 offset0:75 offset1:218
                                        ; implicit-def: $vgpr12
	s_and_saveexec_b64 s[2:3], s[0:1]
	s_cbranch_execz .LBB0_21
; %bb.20:
	v_add_u32_e32 v12, 0x500, v51
	ds_read2_b32 v[37:38], v51 offset0:91 offset1:234
	ds_read2_b32 v[47:48], v12 offset0:57 offset1:200
	;; [unrolled: 1-line block ×3, first 2 shown]
	ds_read_b32 v12, v51 offset:3796
.LBB0_21:
	s_or_b64 exec, exec, s[2:3]
	s_movk_i32 s2, 0x4f
	v_mul_lo_u16_sdwa v13, v49, s2 dst_sel:DWORD dst_unused:UNUSED_PAD src0_sel:BYTE_0 src1_sel:DWORD
	v_lshrrev_b16_e32 v77, 10, v13
	v_add_u16_e32 v15, 0x5b, v49
	v_mul_lo_u16_e32 v13, 13, v77
	v_mul_lo_u16_sdwa v16, v15, s2 dst_sel:DWORD dst_unused:UNUSED_PAD src0_sel:BYTE_0 src1_sel:DWORD
	v_sub_u16_e32 v78, v49, v13
	v_mov_b32_e32 v13, 6
	v_lshrrev_b16_e32 v16, 10, v16
	v_mul_u32_u24_sdwa v14, v78, v13 dst_sel:DWORD dst_unused:UNUSED_PAD src0_sel:BYTE_0 src1_sel:DWORD
	v_mul_lo_u16_e32 v17, 13, v16
	v_lshlrev_b32_e32 v14, 3, v14
	v_sub_u16_e32 v17, v15, v17
	global_load_dwordx4 v[24:27], v14, s[12:13]
	global_load_dwordx4 v[57:60], v14, s[12:13] offset:16
	global_load_dwordx4 v[61:64], v14, s[12:13] offset:32
	v_mul_u32_u24_sdwa v13, v17, v13 dst_sel:DWORD dst_unused:UNUSED_PAD src0_sel:BYTE_0 src1_sel:DWORD
	v_lshlrev_b32_e32 v13, 3, v13
	global_load_dwordx4 v[65:68], v13, s[12:13]
	global_load_dwordx4 v[69:72], v13, s[12:13] offset:16
	global_load_dwordx4 v[73:76], v13, s[12:13] offset:32
	s_mov_b32 s6, 0x3f5ff5aa
	s_mov_b32 s8, 0xbf3bfb3b
	;; [unrolled: 1-line block ×4, first 2 shown]
	s_movk_i32 s14, 0x16c
	s_waitcnt vmcnt(0) lgkmcnt(0)
	s_barrier
	v_mul_f32_e32 v28, v9, v25
	v_mul_f32_e32 v13, v43, v25
	;; [unrolled: 1-line block ×15, first 2 shown]
	v_fma_f32 v43, v43, v24, -v28
	v_fmac_f32_e32 v13, v9, v24
	v_fma_f32 v9, v44, v26, -v25
	v_fmac_f32_e32 v30, v8, v59
	;; [unrolled: 2-line block ×3, first 2 shown]
	v_fma_f32 v5, v40, v63, -v60
	v_mul_f32_e32 v62, v38, v66
	v_mul_f32_e32 v18, v34, v66
	;; [unrolled: 1-line block ×4, first 2 shown]
	v_fmac_f32_e32 v14, v10, v26
	v_fma_f32 v10, v41, v57, -v27
	v_fmac_f32_e32 v15, v7, v57
	v_fma_f32 v7, v42, v59, -v29
	;; [unrolled: 2-line block ×3, first 2 shown]
	v_add_f32_e32 v6, v43, v5
	v_add_f32_e32 v31, v9, v8
	v_mul_f32_e32 v20, v36, v70
	v_mul_f32_e32 v70, v46, v74
	;; [unrolled: 1-line block ×3, first 2 shown]
	v_fma_f32 v24, v34, v65, -v62
	v_fma_f32 v26, v36, v69, -v66
	v_add_f32_e32 v34, v10, v7
	v_add_f32_e32 v36, v31, v6
	v_mul_f32_e32 v22, v32, v74
	v_mul_f32_e32 v72, v12, v76
	v_fmac_f32_e32 v18, v38, v65
	v_fma_f32 v25, v35, v67, -v64
	v_fma_f32 v28, v32, v73, -v70
	v_fmac_f32_e32 v23, v12, v75
	v_sub_f32_e32 v12, v13, v56
	v_sub_f32_e32 v32, v14, v55
	;; [unrolled: 1-line block ×6, first 2 shown]
	v_add_f32_e32 v34, v34, v36
	v_add_f32_e32 v39, v35, v32
	v_sub_f32_e32 v40, v35, v32
	v_sub_f32_e32 v32, v32, v12
	v_add_f32_e32 v41, v53, v34
	v_sub_f32_e32 v35, v12, v35
	v_add_f32_e32 v12, v39, v12
	v_mul_f32_e32 v6, 0x3f4a47b2, v6
	v_mul_f32_e32 v39, 0xbf08b237, v40
	;; [unrolled: 1-line block ×3, first 2 shown]
	v_mov_b32_e32 v42, v41
	v_mul_f32_e32 v36, 0x3d64c772, v31
	v_fmac_f32_e32 v42, 0xbf955555, v34
	v_fma_f32 v34, v38, s8, -v6
	v_fmac_f32_e32 v6, 0x3d64c772, v31
	v_fma_f32 v31, v32, s6, -v39
	;; [unrolled: 2-line block ×3, first 2 shown]
	v_fma_f32 v36, v38, s7, -v36
	v_add_f32_e32 v6, v6, v42
	v_add_f32_e32 v34, v34, v42
	v_fmac_f32_e32 v39, 0x3ee1c552, v12
	v_fmac_f32_e32 v32, 0x3ee1c552, v12
	v_add_f32_e32 v35, v36, v42
	v_fmac_f32_e32 v31, 0x3ee1c552, v12
	v_add_f32_e32 v12, v39, v6
	v_add_f32_e32 v36, v32, v34
	v_sub_f32_e32 v32, v34, v32
	v_sub_f32_e32 v34, v6, v39
	v_mov_b32_e32 v6, 2
	v_sub_f32_e32 v38, v35, v31
	v_add_f32_e32 v35, v31, v35
	v_mad_u32_u24 v31, v77, s14, 0
	v_lshlrev_b32_sdwa v39, v6, v78 dst_sel:DWORD dst_unused:UNUSED_PAD src0_sel:DWORD src1_sel:BYTE_0
	v_fmac_f32_e32 v19, v47, v67
	v_fmac_f32_e32 v20, v48, v69
	;; [unrolled: 1-line block ×4, first 2 shown]
	v_fma_f32 v29, v54, v75, -v72
	v_add3_u32 v31, v31, v39, v50
	ds_write2_b32 v31, v41, v12 offset1:13
	ds_write2_b32 v31, v36, v38 offset0:26 offset1:39
	ds_write2_b32 v31, v35, v32 offset0:52 offset1:65
	ds_write_b32 v31, v34 offset:312
	s_and_saveexec_b64 s[2:3], s[0:1]
	s_cbranch_execz .LBB0_23
; %bb.22:
	v_add_f32_e32 v12, v24, v29
	v_add_f32_e32 v32, v26, v27
	v_sub_f32_e32 v34, v12, v32
	v_mul_f32_e32 v34, 0x3f4a47b2, v34
	v_add_f32_e32 v35, v25, v28
	v_sub_f32_e32 v36, v32, v35
	v_mov_b32_e32 v39, v34
	v_mul_f32_e32 v38, 0x3d64c772, v36
	v_fmac_f32_e32 v39, 0x3d64c772, v36
	v_add_f32_e32 v36, v35, v12
	v_add_f32_e32 v32, v32, v36
	;; [unrolled: 1-line block ×3, first 2 shown]
	v_mov_b32_e32 v36, v33
	v_fmac_f32_e32 v36, 0xbf955555, v32
	v_sub_f32_e32 v40, v21, v20
	v_sub_f32_e32 v42, v19, v22
	v_add_f32_e32 v32, v39, v36
	v_sub_f32_e32 v39, v18, v23
	v_sub_f32_e32 v44, v40, v42
	;; [unrolled: 1-line block ×3, first 2 shown]
	v_mul_f32_e32 v44, 0xbf08b237, v44
	v_add_f32_e32 v40, v40, v42
	v_sub_f32_e32 v12, v35, v12
	v_sub_f32_e32 v35, v42, v39
	v_mov_b32_e32 v45, v44
	v_add_f32_e32 v40, v40, v39
	v_fma_f32 v34, v12, s8, -v34
	v_mul_f32_e32 v39, 0x3f5ff5aa, v35
	v_fma_f32 v35, v35, s6, -v44
	v_fma_f32 v12, v12, s7, -v38
	v_fmac_f32_e32 v45, 0x3eae86e6, v41
	v_fmac_f32_e32 v35, 0x3ee1c552, v40
	v_add_f32_e32 v12, v12, v36
	v_fmac_f32_e32 v45, 0x3ee1c552, v40
	v_add_f32_e32 v34, v34, v36
	v_fma_f32 v39, v41, s9, -v39
	v_add_f32_e32 v36, v35, v12
	v_sub_f32_e32 v12, v12, v35
	v_mad_u32_u24 v35, v16, s14, 0
	v_lshlrev_b32_sdwa v6, v6, v17 dst_sel:DWORD dst_unused:UNUSED_PAD src0_sel:DWORD src1_sel:BYTE_0
	v_sub_f32_e32 v46, v32, v45
	v_fmac_f32_e32 v39, 0x3ee1c552, v40
	v_add_f32_e32 v32, v45, v32
	v_add3_u32 v6, v35, v6, v50
	v_sub_f32_e32 v41, v34, v39
	v_add_f32_e32 v34, v39, v34
	ds_write2_b32 v6, v33, v32 offset1:13
	ds_write2_b32 v6, v34, v12 offset0:26 offset1:39
	ds_write2_b32 v6, v36, v41 offset0:52 offset1:65
	ds_write_b32 v6, v46 offset:312
.LBB0_23:
	s_or_b64 exec, exec, s[2:3]
	v_add_f32_e32 v6, v13, v56
	v_add_f32_e32 v12, v14, v55
	v_sub_f32_e32 v8, v9, v8
	v_add_f32_e32 v9, v15, v30
	v_sub_f32_e32 v7, v7, v10
	;; [unrolled: 2-line block ×3, first 2 shown]
	v_sub_f32_e32 v13, v12, v6
	v_sub_f32_e32 v6, v6, v9
	;; [unrolled: 1-line block ×3, first 2 shown]
	v_add_f32_e32 v9, v9, v10
	v_add_f32_e32 v14, v7, v8
	v_sub_f32_e32 v15, v7, v8
	v_sub_f32_e32 v8, v8, v5
	v_add_f32_e32 v30, v11, v9
	v_sub_f32_e32 v7, v5, v7
	v_add_f32_e32 v5, v14, v5
	v_mul_f32_e32 v6, 0x3f4a47b2, v6
	v_mul_f32_e32 v10, 0x3d64c772, v12
	;; [unrolled: 1-line block ×4, first 2 shown]
	v_mov_b32_e32 v15, v30
	v_fmac_f32_e32 v15, 0xbf955555, v9
	v_fma_f32 v9, v13, s7, -v10
	v_fma_f32 v10, v13, s8, -v6
	v_fmac_f32_e32 v6, 0x3d64c772, v12
	v_fma_f32 v8, v8, s6, -v11
	v_fmac_f32_e32 v11, 0x3eae86e6, v7
	v_fma_f32 v7, v7, s9, -v14
	v_add_f32_e32 v6, v6, v15
	v_add_f32_e32 v9, v9, v15
	v_add_f32_e32 v10, v10, v15
	v_fmac_f32_e32 v11, 0x3ee1c552, v5
	v_fmac_f32_e32 v8, 0x3ee1c552, v5
	;; [unrolled: 1-line block ×3, first 2 shown]
	v_add_u32_e32 v5, 0x400, v51
	v_sub_f32_e32 v32, v6, v11
	v_sub_f32_e32 v33, v10, v7
	v_add_f32_e32 v34, v8, v9
	v_sub_f32_e32 v35, v9, v8
	v_add_f32_e32 v36, v7, v10
	v_add_f32_e32 v38, v11, v6
	s_waitcnt lgkmcnt(0)
	s_barrier
	ds_read_b32 v15, v52
	ds_read2_b32 v[11:12], v51 offset0:91 offset1:182
	ds_read2_b32 v[7:8], v5 offset0:17 offset1:108
	v_add_u32_e32 v5, 0x600, v51
	v_add_u32_e32 v9, 0x800, v51
	;; [unrolled: 1-line block ×3, first 2 shown]
	ds_read2_b32 v[5:6], v5 offset0:71 offset1:162
	ds_read2_b32 v[9:10], v9 offset0:125 offset1:216
	;; [unrolled: 1-line block ×3, first 2 shown]
	s_waitcnt lgkmcnt(0)
	s_barrier
	ds_write2_b32 v31, v30, v32 offset1:13
	ds_write2_b32 v31, v33, v34 offset0:26 offset1:39
	ds_write2_b32 v31, v35, v36 offset0:52 offset1:65
	ds_write_b32 v31, v38 offset:312
	s_and_saveexec_b64 s[2:3], s[0:1]
	s_cbranch_execz .LBB0_25
; %bb.24:
	v_add_f32_e32 v18, v18, v23
	v_add_f32_e32 v19, v19, v22
	v_sub_f32_e32 v23, v24, v29
	v_add_f32_e32 v20, v20, v21
	v_add_f32_e32 v24, v19, v18
	v_sub_f32_e32 v22, v25, v28
	v_sub_f32_e32 v21, v27, v26
	;; [unrolled: 1-line block ×5, first 2 shown]
	v_add_f32_e32 v20, v20, v24
	v_add_f32_e32 v26, v21, v22
	v_add_f32_e32 v24, v37, v20
	v_sub_f32_e32 v27, v21, v22
	v_sub_f32_e32 v21, v23, v21
	;; [unrolled: 1-line block ×3, first 2 shown]
	v_add_f32_e32 v23, v26, v23
	v_mul_f32_e32 v26, 0x3d64c772, v19
	v_mov_b32_e32 v29, v24
	s_mov_b32 s1, 0x3f3bfb3b
	v_mul_f32_e32 v18, 0x3f4a47b2, v18
	v_mul_f32_e32 v27, 0xbf08b237, v27
	s_mov_b32 s0, 0x3f5ff5aa
	v_fmac_f32_e32 v29, 0xbf955555, v20
	v_fma_f32 v20, v25, s1, -v26
	s_mov_b32 s1, 0xbf3bfb3b
	v_mul_f32_e32 v28, 0x3f5ff5aa, v22
	v_fma_f32 v25, v25, s1, -v18
	v_fmac_f32_e32 v18, 0x3d64c772, v19
	v_fma_f32 v19, v22, s0, -v27
	s_mov_b32 s0, 0xbeae86e6
	v_fmac_f32_e32 v27, 0x3eae86e6, v21
	v_fma_f32 v21, v21, s0, -v28
	v_add_f32_e32 v20, v20, v29
	v_add_f32_e32 v22, v25, v29
	v_fmac_f32_e32 v19, 0x3ee1c552, v23
	v_fmac_f32_e32 v21, 0x3ee1c552, v23
	v_sub_f32_e32 v25, v22, v21
	v_add_f32_e32 v26, v19, v20
	v_sub_f32_e32 v19, v20, v19
	v_add_f32_e32 v20, v21, v22
	s_movk_i32 s0, 0x16c
	v_mov_b32_e32 v21, 2
	v_add_f32_e32 v18, v18, v29
	v_fmac_f32_e32 v27, 0x3ee1c552, v23
	v_mad_u32_u24 v16, v16, s0, 0
	v_lshlrev_b32_sdwa v17, v21, v17 dst_sel:DWORD dst_unused:UNUSED_PAD src0_sel:DWORD src1_sel:BYTE_0
	v_sub_f32_e32 v23, v18, v27
	v_add3_u32 v16, v16, v17, v50
	v_add_f32_e32 v18, v27, v18
	ds_write2_b32 v16, v24, v23 offset1:13
	ds_write2_b32 v16, v25, v26 offset0:26 offset1:39
	ds_write2_b32 v16, v19, v20 offset0:52 offset1:65
	ds_write_b32 v16, v18 offset:312
.LBB0_25:
	s_or_b64 exec, exec, s[2:3]
	s_waitcnt lgkmcnt(0)
	s_barrier
	s_and_saveexec_b64 s[0:1], vcc
	s_cbranch_execz .LBB0_27
; %bb.26:
	v_mul_u32_u24_e32 v16, 10, v49
	v_lshlrev_b32_e32 v36, 3, v16
	global_load_dwordx4 v[16:19], v36, s[12:13] offset:688
	global_load_dwordx4 v[20:23], v36, s[12:13] offset:624
	;; [unrolled: 1-line block ×5, first 2 shown]
	v_mul_lo_u32 v46, s5, v3
	v_mul_lo_u32 v47, s4, v4
	v_mad_u64_u32 v[36:37], s[0:1], s4, v3, 0
	v_add_u32_e32 v38, 0xc00, v51
	ds_read2_b32 v[3:4], v51 offset0:91 offset1:182
	v_add_u32_e32 v40, 0x800, v51
	v_add_u32_e32 v42, 0x400, v51
	;; [unrolled: 1-line block ×3, first 2 shown]
	ds_read_b32 v48, v52
	ds_read2_b32 v[38:39], v38 offset0:51 offset1:142
	ds_read2_b32 v[40:41], v40 offset0:125 offset1:216
	;; [unrolled: 1-line block ×4, first 2 shown]
	v_add3_u32 v37, v37, v47, v46
	s_mov_b32 s0, 0x3ed4b147
	s_mov_b32 s1, 0xbf27a4f4
	;; [unrolled: 1-line block ×5, first 2 shown]
	v_lshlrev_b64 v[1:2], 3, v[1:2]
	s_waitcnt vmcnt(4)
	v_mul_f32_e32 v46, v14, v19
	s_waitcnt vmcnt(3)
	v_mul_f32_e32 v47, v11, v21
	v_mul_f32_e32 v49, v13, v17
	;; [unrolled: 1-line block ×3, first 2 shown]
	s_waitcnt vmcnt(1)
	v_mul_f32_e32 v52, v7, v29
	s_waitcnt lgkmcnt(1)
	v_mul_f32_e32 v29, v42, v29
	v_fmac_f32_e32 v46, v39, v18
	v_fmac_f32_e32 v47, v3, v20
	v_mul_f32_e32 v21, v3, v21
	v_mul_f32_e32 v19, v39, v19
	;; [unrolled: 1-line block ×6, first 2 shown]
	v_fmac_f32_e32 v49, v38, v16
	v_fmac_f32_e32 v50, v4, v22
	;; [unrolled: 1-line block ×3, first 2 shown]
	v_fma_f32 v28, v7, v28, -v29
	v_add_f32_e32 v29, v46, v47
	v_mul_f32_e32 v23, v4, v23
	v_mul_f32_e32 v17, v38, v17
	;; [unrolled: 1-line block ×3, first 2 shown]
	v_fma_f32 v39, v11, v20, -v21
	v_fma_f32 v57, v14, v18, -v19
	v_fmac_f32_e32 v51, v41, v26
	v_fma_f32 v26, v10, v26, -v27
	v_fmac_f32_e32 v54, v43, v30
	v_fma_f32 v27, v8, v30, -v31
	v_add_f32_e32 v30, v49, v50
	v_mul_f32_e32 v18, 0x3ed4b147, v29
	v_mul_f32_e32 v25, v40, v25
	s_waitcnt vmcnt(0)
	v_mul_f32_e32 v55, v6, v35
	v_mul_f32_e32 v56, v5, v33
	s_waitcnt lgkmcnt(0)
	v_mul_f32_e32 v33, v44, v33
	v_fma_f32 v22, v12, v22, -v23
	v_fma_f32 v38, v13, v16, -v17
	v_fmac_f32_e32 v53, v40, v24
	v_sub_f32_e32 v20, v39, v57
	v_add_f32_e32 v31, v51, v52
	v_mul_f32_e32 v19, 0xbf27a4f4, v30
	v_mov_b32_e32 v3, v18
	v_fma_f32 v24, v9, v24, -v25
	v_fmac_f32_e32 v55, v45, v34
	v_fmac_f32_e32 v56, v44, v32
	v_fma_f32 v25, v5, v32, -v33
	v_sub_f32_e32 v21, v22, v38
	v_add_f32_e32 v32, v53, v54
	v_mul_f32_e32 v41, 0xbf75a155, v31
	v_mov_b32_e32 v4, v19
	v_fmac_f32_e32 v3, 0x3f68dda4, v20
	v_mul_f32_e32 v35, v45, v35
	v_sub_f32_e32 v23, v28, v26
	v_add_f32_e32 v40, v55, v56
	v_mul_f32_e32 v42, 0xbe11bafb, v32
	v_mov_b32_e32 v5, v41
	v_fmac_f32_e32 v4, 0x3f4178ce, v21
	v_add_f32_e32 v3, v48, v3
	v_sub_f32_e32 v33, v27, v24
	v_mul_f32_e32 v43, 0x3f575c64, v40
	v_mov_b32_e32 v7, v42
	v_fmac_f32_e32 v5, 0xbe903f40, v23
	v_add_f32_e32 v3, v3, v4
	v_fma_f32 v34, v6, v34, -v35
	v_fmac_f32_e32 v7, 0xbf7d64f0, v33
	v_add_f32_e32 v3, v3, v5
	v_sub_f32_e32 v35, v25, v34
	v_mov_b32_e32 v4, v43
	v_sub_f32_e32 v45, v47, v46
	v_add_f32_e32 v3, v3, v7
	v_fmac_f32_e32 v4, 0xbf0a6770, v35
	v_mul_f32_e32 v58, 0xbf68dda4, v45
	v_sub_f32_e32 v60, v50, v49
	v_add_f32_e32 v4, v3, v4
	v_add_f32_e32 v44, v57, v39
	v_mov_b32_e32 v3, v58
	v_mul_f32_e32 v61, 0xbf4178ce, v60
	v_fmac_f32_e32 v3, 0x3ed4b147, v44
	v_add_f32_e32 v59, v38, v22
	v_mov_b32_e32 v5, v61
	v_sub_f32_e32 v63, v52, v51
	v_add_f32_e32 v3, v15, v3
	v_fmac_f32_e32 v5, 0xbf27a4f4, v59
	v_mul_f32_e32 v64, 0x3e903f40, v63
	v_add_f32_e32 v3, v3, v5
	v_add_f32_e32 v62, v26, v28
	v_mov_b32_e32 v5, v64
	v_sub_f32_e32 v66, v54, v53
	v_fmac_f32_e32 v5, 0xbf75a155, v62
	v_mul_f32_e32 v67, 0x3f7d64f0, v66
	v_add_f32_e32 v3, v3, v5
	v_add_f32_e32 v65, v24, v27
	v_mov_b32_e32 v5, v67
	v_sub_f32_e32 v69, v56, v55
	v_fmac_f32_e32 v5, 0xbe11bafb, v65
	v_mul_f32_e32 v70, 0x3f0a6770, v69
	v_add_f32_e32 v3, v3, v5
	v_add_f32_e32 v68, v34, v25
	v_mov_b32_e32 v5, v70
	v_fmac_f32_e32 v5, 0x3f575c64, v68
	v_mul_f32_e32 v16, 0xbe11bafb, v29
	v_add_f32_e32 v3, v3, v5
	v_mov_b32_e32 v5, v16
	v_mul_f32_e32 v17, 0xbf75a155, v30
	v_fmac_f32_e32 v5, 0x3f7d64f0, v20
	v_mov_b32_e32 v6, v17
	v_add_f32_e32 v5, v48, v5
	v_fmac_f32_e32 v6, 0xbe903f40, v21
	v_mul_f32_e32 v71, 0x3ed4b147, v31
	v_add_f32_e32 v5, v5, v6
	v_mov_b32_e32 v6, v71
	v_fmac_f32_e32 v6, 0xbf68dda4, v23
	v_mul_f32_e32 v72, 0x3f575c64, v32
	v_add_f32_e32 v5, v5, v6
	v_mov_b32_e32 v6, v72
	v_fmac_f32_e32 v6, 0x3f0a6770, v33
	v_mul_f32_e32 v73, 0xbf27a4f4, v40
	v_add_f32_e32 v5, v5, v6
	v_mov_b32_e32 v6, v73
	v_fmac_f32_e32 v6, 0x3f4178ce, v35
	v_mul_f32_e32 v74, 0xbf7d64f0, v45
	v_add_f32_e32 v6, v5, v6
	v_mov_b32_e32 v5, v74
	v_mul_f32_e32 v75, 0x3e903f40, v60
	v_fmac_f32_e32 v5, 0xbe11bafb, v44
	v_mov_b32_e32 v7, v75
	v_add_f32_e32 v5, v15, v5
	v_fmac_f32_e32 v7, 0xbf75a155, v59
	v_mul_f32_e32 v76, 0x3f68dda4, v63
	v_add_f32_e32 v5, v5, v7
	v_mov_b32_e32 v7, v76
	v_fmac_f32_e32 v7, 0x3ed4b147, v62
	v_mul_f32_e32 v77, 0xbf0a6770, v66
	v_add_f32_e32 v5, v5, v7
	v_mov_b32_e32 v7, v77
	v_fmac_f32_e32 v7, 0x3f575c64, v65
	v_mul_f32_e32 v78, 0xbf4178ce, v69
	;; [unrolled: 20-line block ×3, first 2 shown]
	v_add_f32_e32 v7, v7, v8
	v_mov_b32_e32 v8, v81
	v_fmac_f32_e32 v8, 0xbf68dda4, v35
	v_mul_f32_e32 v82, 0xbf4178ce, v45
	v_add_f32_e32 v8, v7, v8
	v_mov_b32_e32 v7, v82
	v_mul_f32_e32 v83, 0x3f7d64f0, v60
	v_fmac_f32_e32 v7, 0xbf27a4f4, v44
	v_mov_b32_e32 v9, v83
	v_add_f32_e32 v7, v15, v7
	v_fmac_f32_e32 v9, 0xbe11bafb, v59
	v_mul_f32_e32 v84, 0xbf0a6770, v63
	v_fmac_f32_e32 v18, 0xbf68dda4, v20
	v_add_f32_e32 v7, v7, v9
	v_mov_b32_e32 v9, v84
	v_add_f32_e32 v18, v48, v18
	v_fmac_f32_e32 v19, 0xbf4178ce, v21
	v_fmac_f32_e32 v9, 0x3f575c64, v62
	v_mul_f32_e32 v85, 0xbe903f40, v66
	v_add_f32_e32 v18, v18, v19
	v_fmac_f32_e32 v41, 0x3e903f40, v23
	v_add_f32_e32 v7, v7, v9
	v_mov_b32_e32 v9, v85
	v_add_f32_e32 v18, v18, v41
	v_fmac_f32_e32 v42, 0x3f7d64f0, v33
	v_fmac_f32_e32 v9, 0xbf75a155, v65
	v_mul_f32_e32 v86, 0x3f68dda4, v69
	v_add_f32_e32 v18, v18, v42
	v_fmac_f32_e32 v43, 0x3f0a6770, v35
	v_add_f32_e32 v7, v7, v9
	v_mov_b32_e32 v9, v86
	v_add_f32_e32 v19, v18, v43
	v_fma_f32 v18, v44, s0, -v58
	v_fmac_f32_e32 v9, 0x3ed4b147, v68
	v_mul_f32_e32 v11, 0xbf75a155, v29
	v_add_f32_e32 v18, v15, v18
	v_fma_f32 v41, v59, s1, -v61
	v_add_f32_e32 v7, v7, v9
	v_mov_b32_e32 v9, v11
	v_mul_f32_e32 v12, 0x3f575c64, v30
	v_add_f32_e32 v18, v18, v41
	v_fma_f32 v41, v62, s2, -v64
	v_fmac_f32_e32 v9, 0x3e903f40, v20
	v_mov_b32_e32 v10, v12
	v_add_f32_e32 v18, v18, v41
	v_fma_f32 v41, v65, s3, -v67
	v_add_f32_e32 v9, v48, v9
	v_fmac_f32_e32 v10, 0xbf0a6770, v21
	v_mul_f32_e32 v87, 0xbf27a4f4, v31
	v_add_f32_e32 v18, v18, v41
	v_fma_f32 v41, v68, s4, -v70
	v_add_f32_e32 v9, v9, v10
	v_mov_b32_e32 v10, v87
	v_add_f32_e32 v18, v18, v41
	v_mul_f32_e32 v41, 0xbf0a6770, v20
	v_fmac_f32_e32 v10, 0x3f4178ce, v23
	v_mul_f32_e32 v88, 0x3ed4b147, v32
	v_fmac_f32_e32 v11, 0xbe903f40, v20
	v_fmac_f32_e32 v13, 0xbf4178ce, v20
	;; [unrolled: 1-line block ×3, first 2 shown]
	v_mov_b32_e32 v20, v41
	v_mul_f32_e32 v42, 0xbf68dda4, v21
	v_add_f32_e32 v9, v9, v10
	v_mov_b32_e32 v10, v88
	v_fmac_f32_e32 v12, 0x3f0a6770, v21
	v_fmac_f32_e32 v14, 0x3f7d64f0, v21
	;; [unrolled: 1-line block ×4, first 2 shown]
	v_mov_b32_e32 v21, v42
	v_fmac_f32_e32 v10, 0xbf68dda4, v33
	v_mul_f32_e32 v89, 0xbe11bafb, v40
	v_add_f32_e32 v20, v48, v20
	v_fmac_f32_e32 v21, 0x3ed4b147, v30
	v_mul_f32_e32 v43, 0xbf7d64f0, v23
	v_add_f32_e32 v9, v9, v10
	v_mov_b32_e32 v10, v89
	v_add_f32_e32 v20, v20, v21
	v_mov_b32_e32 v21, v43
	v_add_f32_e32 v39, v15, v39
	v_fmac_f32_e32 v10, 0x3f7d64f0, v35
	v_mul_f32_e32 v90, 0xbe903f40, v45
	v_fmac_f32_e32 v88, 0x3f68dda4, v33
	v_add_f32_e32 v13, v48, v13
	v_fmac_f32_e32 v80, 0xbe903f40, v33
	v_add_f32_e32 v16, v48, v16
	v_fmac_f32_e32 v72, 0xbf0a6770, v33
	v_fmac_f32_e32 v21, 0xbe11bafb, v31
	v_mul_f32_e32 v33, 0xbf4178ce, v33
	v_add_f32_e32 v22, v39, v22
	v_add_f32_e32 v10, v9, v10
	v_mov_b32_e32 v9, v90
	v_mul_f32_e32 v91, 0x3f0a6770, v60
	v_add_f32_e32 v11, v48, v11
	v_add_f32_e32 v13, v13, v14
	v_fmac_f32_e32 v79, 0xbf0a6770, v23
	v_add_f32_e32 v16, v16, v17
	v_fmac_f32_e32 v71, 0x3f68dda4, v23
	v_add_f32_e32 v20, v20, v21
	v_mov_b32_e32 v21, v33
	v_add_f32_e32 v22, v22, v28
	v_fmac_f32_e32 v9, 0xbf75a155, v44
	v_mov_b32_e32 v92, v91
	v_add_f32_e32 v11, v11, v12
	v_fmac_f32_e32 v87, 0xbf4178ce, v23
	v_fmac_f32_e32 v89, 0xbf7d64f0, v35
	v_add_f32_e32 v13, v13, v79
	v_fmac_f32_e32 v81, 0x3f68dda4, v35
	v_add_f32_e32 v16, v16, v71
	v_fmac_f32_e32 v73, 0xbf4178ce, v35
	v_fmac_f32_e32 v21, 0xbf27a4f4, v32
	v_mul_f32_e32 v35, 0xbe903f40, v35
	v_add_f32_e32 v22, v22, v27
	v_add_f32_e32 v9, v15, v9
	v_fmac_f32_e32 v92, 0x3f575c64, v59
	v_add_f32_e32 v11, v11, v87
	v_add_f32_e32 v13, v13, v80
	;; [unrolled: 1-line block ×4, first 2 shown]
	v_mov_b32_e32 v21, v35
	v_add_f32_e32 v22, v22, v25
	v_add_f32_e32 v9, v9, v92
	v_mul_f32_e32 v92, 0xbf4178ce, v63
	v_add_f32_e32 v11, v11, v88
	v_add_f32_e32 v14, v13, v81
	v_fma_f32 v13, v44, s1, -v82
	v_add_f32_e32 v17, v16, v73
	v_fma_f32 v16, v44, s3, -v74
	v_fmac_f32_e32 v21, 0xbf75a155, v40
	v_mul_f32_e32 v45, 0xbf0a6770, v45
	v_add_f32_e32 v22, v34, v22
	v_mov_b32_e32 v93, v92
	v_add_f32_e32 v12, v11, v89
	v_fma_f32 v11, v44, s2, -v90
	v_add_f32_e32 v13, v15, v13
	v_fma_f32 v79, v59, s3, -v83
	;; [unrolled: 2-line block ×4, first 2 shown]
	v_mul_f32_e32 v58, 0xbf68dda4, v60
	v_add_f32_e32 v22, v24, v22
	v_fma_f32 v24, v29, s4, -v41
	v_fmac_f32_e32 v93, 0xbf27a4f4, v62
	v_add_f32_e32 v11, v15, v11
	v_fma_f32 v87, v59, s4, -v91
	v_add_f32_e32 v13, v13, v79
	v_fma_f32 v79, v62, s4, -v84
	;; [unrolled: 2-line block ×4, first 2 shown]
	v_mul_f32_e32 v60, 0xbf7d64f0, v63
	v_add_f32_e32 v24, v48, v24
	v_fma_f32 v25, v30, s0, -v42
	v_add_f32_e32 v9, v9, v93
	v_mul_f32_e32 v93, 0x3f68dda4, v66
	v_add_f32_e32 v11, v11, v87
	v_fma_f32 v87, v62, s1, -v92
	v_add_f32_e32 v13, v13, v79
	v_fma_f32 v79, v65, s2, -v85
	;; [unrolled: 2-line block ×4, first 2 shown]
	v_mul_f32_e32 v61, 0xbf4178ce, v66
	v_add_f32_e32 v24, v24, v25
	v_fma_f32 v25, v31, s3, -v43
	v_add_f32_e32 v11, v11, v87
	v_fma_f32 v87, v65, s0, -v93
	;; [unrolled: 2-line block ×5, first 2 shown]
	v_add_f32_e32 v22, v26, v22
	v_add_f32_e32 v24, v24, v25
	v_fma_f32 v25, v32, s1, -v33
	v_mad_u64_u32 v[26:27], s[0:1], s20, v0, 0
	v_fmac_f32_e32 v45, 0x3f575c64, v44
	v_add_f32_e32 v15, v15, v45
	v_fmac_f32_e32 v58, 0x3ed4b147, v59
	v_add_f32_e32 v24, v24, v25
	v_fma_f32 v25, v40, s2, -v35
	v_add_f32_e32 v15, v15, v58
	v_fmac_f32_e32 v60, 0xbe11bafb, v62
	v_add_f32_e32 v16, v16, v71
	v_add_f32_e32 v25, v24, v25
	;; [unrolled: 1-line block ×3, first 2 shown]
	v_mov_b32_e32 v15, v27
	v_mad_u64_u32 v[27:28], s[0:1], s21, v0, v[15:16]
	v_mul_f32_e32 v63, 0xbe903f40, v69
	v_fmac_f32_e32 v61, 0xbf27a4f4, v65
	v_lshlrev_b64 v[28:29], 3, v[36:37]
	v_add_f32_e32 v20, v20, v23
	v_fma_f32 v23, v68, s2, -v63
	v_add_f32_e32 v15, v24, v61
	v_fmac_f32_e32 v63, 0xbf75a155, v68
	v_add_f32_e32 v24, v15, v63
	v_mov_b32_e32 v15, s11
	v_add_co_u32_e32 v28, vcc, s10, v28
	v_addc_co_u32_e32 v15, vcc, v15, v29, vcc
	v_add_co_u32_e32 v30, vcc, v28, v1
	v_add_u32_e32 v28, 0x5b, v0
	v_addc_co_u32_e32 v31, vcc, v15, v2, vcc
	v_lshlrev_b64 v[1:2], 3, v[26:27]
	v_mad_u64_u32 v[26:27], s[0:1], s20, v28, 0
	v_add_f32_e32 v20, v20, v23
	v_add_f32_e32 v23, v48, v47
	;; [unrolled: 1-line block ×5, first 2 shown]
	v_mov_b32_e32 v15, v27
	v_add_f32_e32 v23, v23, v56
	v_mad_u64_u32 v[27:28], s[0:1], s21, v28, v[15:16]
	v_add_u32_e32 v32, 0xb6, v0
	v_add_f32_e32 v23, v55, v23
	v_mad_u64_u32 v[28:29], s[0:1], s20, v32, 0
	v_add_f32_e32 v23, v53, v23
	v_add_f32_e32 v23, v51, v23
	;; [unrolled: 1-line block ×4, first 2 shown]
	v_add_co_u32_e32 v1, vcc, v30, v1
	v_add_f32_e32 v23, v46, v23
	v_add_f32_e32 v22, v57, v22
	v_addc_co_u32_e32 v2, vcc, v31, v2, vcc
	v_mov_b32_e32 v15, v29
	global_store_dwordx2 v[1:2], v[22:23], off
	v_mad_u64_u32 v[22:23], s[0:1], s21, v32, v[15:16]
	v_lshlrev_b64 v[1:2], 3, v[26:27]
	v_add_u32_e32 v26, 0x16c, v0
	v_add_co_u32_e32 v1, vcc, v30, v1
	v_addc_co_u32_e32 v2, vcc, v31, v2, vcc
	v_mov_b32_e32 v29, v22
	v_add_u32_e32 v22, 0x111, v0
	global_store_dwordx2 v[1:2], v[20:21], off
	v_mad_u64_u32 v[20:21], s[0:1], s20, v22, 0
	v_lshlrev_b64 v[1:2], 3, v[28:29]
	v_add_f32_e32 v13, v13, v79
	v_mov_b32_e32 v15, v21
	v_mad_u64_u32 v[21:22], s[0:1], s21, v22, v[15:16]
	v_add_co_u32_e32 v1, vcc, v30, v1
	v_addc_co_u32_e32 v2, vcc, v31, v2, vcc
	v_mad_u64_u32 v[22:23], s[0:1], s20, v26, 0
	global_store_dwordx2 v[1:2], v[18:19], off
	v_lshlrev_b64 v[1:2], 3, v[20:21]
	v_mov_b32_e32 v15, v23
	v_add_co_u32_e32 v1, vcc, v30, v1
	v_addc_co_u32_e32 v2, vcc, v31, v2, vcc
	global_store_dwordx2 v[1:2], v[16:17], off
	v_add_u32_e32 v17, 0x1c7, v0
	v_mad_u64_u32 v[18:19], s[0:1], s21, v26, v[15:16]
	v_mad_u64_u32 v[15:16], s[0:1], s20, v17, 0
	v_mov_b32_e32 v23, v18
	v_add_u32_e32 v19, 0x222, v0
	v_mad_u64_u32 v[16:17], s[0:1], s21, v17, v[16:17]
	v_lshlrev_b64 v[1:2], 3, v[22:23]
	v_mad_u64_u32 v[17:18], s[0:1], s20, v19, 0
	v_add_co_u32_e32 v1, vcc, v30, v1
	v_addc_co_u32_e32 v2, vcc, v31, v2, vcc
	global_store_dwordx2 v[1:2], v[13:14], off
	v_mov_b32_e32 v13, v18
	v_mov_b32_e32 v94, v93
	v_mad_u64_u32 v[13:14], s[0:1], s21, v19, v[13:14]
	v_fmac_f32_e32 v94, 0x3ed4b147, v65
	v_lshlrev_b64 v[1:2], 3, v[15:16]
	v_add_f32_e32 v9, v9, v94
	v_mul_f32_e32 v94, 0xbf7d64f0, v69
	v_add_f32_e32 v11, v11, v87
	v_fma_f32 v87, v68, s3, -v94
	v_add_co_u32_e32 v1, vcc, v30, v1
	v_add_f32_e32 v11, v11, v87
	v_addc_co_u32_e32 v2, vcc, v31, v2, vcc
	v_mov_b32_e32 v18, v13
	v_add_u32_e32 v13, 0x27d, v0
	global_store_dwordx2 v[1:2], v[11:12], off
	v_mad_u64_u32 v[11:12], s[0:1], s20, v13, 0
	v_add_u32_e32 v15, 0x2d8, v0
	v_lshlrev_b64 v[1:2], 3, v[17:18]
	v_mad_u64_u32 v[12:13], s[0:1], s21, v13, v[12:13]
	v_mad_u64_u32 v[13:14], s[0:1], s20, v15, 0
	v_mov_b32_e32 v95, v94
	v_fmac_f32_e32 v95, 0xbe11bafb, v68
	v_add_co_u32_e32 v1, vcc, v30, v1
	v_add_f32_e32 v9, v9, v95
	v_addc_co_u32_e32 v2, vcc, v31, v2, vcc
	global_store_dwordx2 v[1:2], v[9:10], off
	v_mov_b32_e32 v9, v14
	v_mad_u64_u32 v[9:10], s[0:1], s21, v15, v[9:10]
	v_lshlrev_b64 v[1:2], 3, v[11:12]
	v_add_u32_e32 v11, 0x38e, v0
	v_add_co_u32_e32 v1, vcc, v30, v1
	v_addc_co_u32_e32 v2, vcc, v31, v2, vcc
	v_mov_b32_e32 v14, v9
	v_add_u32_e32 v9, 0x333, v0
	global_store_dwordx2 v[1:2], v[7:8], off
	v_mad_u64_u32 v[7:8], s[0:1], s20, v9, 0
	v_lshlrev_b64 v[1:2], 3, v[13:14]
	v_mad_u64_u32 v[8:9], s[0:1], s21, v9, v[8:9]
	v_mad_u64_u32 v[9:10], s[0:1], s20, v11, 0
	v_add_co_u32_e32 v1, vcc, v30, v1
	v_addc_co_u32_e32 v2, vcc, v31, v2, vcc
	global_store_dwordx2 v[1:2], v[5:6], off
	v_mov_b32_e32 v2, v10
	v_mad_u64_u32 v[5:6], s[0:1], s21, v11, v[2:3]
	v_lshlrev_b64 v[0:1], 3, v[7:8]
	v_add_co_u32_e32 v0, vcc, v30, v0
	v_addc_co_u32_e32 v1, vcc, v31, v1, vcc
	v_mov_b32_e32 v10, v5
	global_store_dwordx2 v[0:1], v[3:4], off
	v_lshlrev_b64 v[0:1], 3, v[9:10]
	v_add_co_u32_e32 v0, vcc, v30, v0
	v_addc_co_u32_e32 v1, vcc, v31, v1, vcc
	global_store_dwordx2 v[0:1], v[24:25], off
.LBB0_27:
	s_endpgm
	.section	.rodata,"a",@progbits
	.p2align	6, 0x0
	.amdhsa_kernel fft_rtc_fwd_len1001_factors_13_7_11_wgs_182_tpt_91_halfLds_sp_op_CI_CI_sbrr_dirReg
		.amdhsa_group_segment_fixed_size 0
		.amdhsa_private_segment_fixed_size 0
		.amdhsa_kernarg_size 104
		.amdhsa_user_sgpr_count 6
		.amdhsa_user_sgpr_private_segment_buffer 1
		.amdhsa_user_sgpr_dispatch_ptr 0
		.amdhsa_user_sgpr_queue_ptr 0
		.amdhsa_user_sgpr_kernarg_segment_ptr 1
		.amdhsa_user_sgpr_dispatch_id 0
		.amdhsa_user_sgpr_flat_scratch_init 0
		.amdhsa_user_sgpr_private_segment_size 0
		.amdhsa_uses_dynamic_stack 0
		.amdhsa_system_sgpr_private_segment_wavefront_offset 0
		.amdhsa_system_sgpr_workgroup_id_x 1
		.amdhsa_system_sgpr_workgroup_id_y 0
		.amdhsa_system_sgpr_workgroup_id_z 0
		.amdhsa_system_sgpr_workgroup_info 0
		.amdhsa_system_vgpr_workitem_id 0
		.amdhsa_next_free_vgpr 115
		.amdhsa_next_free_sgpr 32
		.amdhsa_reserve_vcc 1
		.amdhsa_reserve_flat_scratch 0
		.amdhsa_float_round_mode_32 0
		.amdhsa_float_round_mode_16_64 0
		.amdhsa_float_denorm_mode_32 3
		.amdhsa_float_denorm_mode_16_64 3
		.amdhsa_dx10_clamp 1
		.amdhsa_ieee_mode 1
		.amdhsa_fp16_overflow 0
		.amdhsa_exception_fp_ieee_invalid_op 0
		.amdhsa_exception_fp_denorm_src 0
		.amdhsa_exception_fp_ieee_div_zero 0
		.amdhsa_exception_fp_ieee_overflow 0
		.amdhsa_exception_fp_ieee_underflow 0
		.amdhsa_exception_fp_ieee_inexact 0
		.amdhsa_exception_int_div_zero 0
	.end_amdhsa_kernel
	.text
.Lfunc_end0:
	.size	fft_rtc_fwd_len1001_factors_13_7_11_wgs_182_tpt_91_halfLds_sp_op_CI_CI_sbrr_dirReg, .Lfunc_end0-fft_rtc_fwd_len1001_factors_13_7_11_wgs_182_tpt_91_halfLds_sp_op_CI_CI_sbrr_dirReg
                                        ; -- End function
	.section	.AMDGPU.csdata,"",@progbits
; Kernel info:
; codeLenInByte = 10244
; NumSgprs: 36
; NumVgprs: 115
; ScratchSize: 0
; MemoryBound: 0
; FloatMode: 240
; IeeeMode: 1
; LDSByteSize: 0 bytes/workgroup (compile time only)
; SGPRBlocks: 4
; VGPRBlocks: 28
; NumSGPRsForWavesPerEU: 36
; NumVGPRsForWavesPerEU: 115
; Occupancy: 2
; WaveLimiterHint : 1
; COMPUTE_PGM_RSRC2:SCRATCH_EN: 0
; COMPUTE_PGM_RSRC2:USER_SGPR: 6
; COMPUTE_PGM_RSRC2:TRAP_HANDLER: 0
; COMPUTE_PGM_RSRC2:TGID_X_EN: 1
; COMPUTE_PGM_RSRC2:TGID_Y_EN: 0
; COMPUTE_PGM_RSRC2:TGID_Z_EN: 0
; COMPUTE_PGM_RSRC2:TIDIG_COMP_CNT: 0
	.type	__hip_cuid_75bc0809ae3a7015,@object ; @__hip_cuid_75bc0809ae3a7015
	.section	.bss,"aw",@nobits
	.globl	__hip_cuid_75bc0809ae3a7015
__hip_cuid_75bc0809ae3a7015:
	.byte	0                               ; 0x0
	.size	__hip_cuid_75bc0809ae3a7015, 1

	.ident	"AMD clang version 19.0.0git (https://github.com/RadeonOpenCompute/llvm-project roc-6.4.0 25133 c7fe45cf4b819c5991fe208aaa96edf142730f1d)"
	.section	".note.GNU-stack","",@progbits
	.addrsig
	.addrsig_sym __hip_cuid_75bc0809ae3a7015
	.amdgpu_metadata
---
amdhsa.kernels:
  - .args:
      - .actual_access:  read_only
        .address_space:  global
        .offset:         0
        .size:           8
        .value_kind:     global_buffer
      - .offset:         8
        .size:           8
        .value_kind:     by_value
      - .actual_access:  read_only
        .address_space:  global
        .offset:         16
        .size:           8
        .value_kind:     global_buffer
      - .actual_access:  read_only
        .address_space:  global
        .offset:         24
        .size:           8
        .value_kind:     global_buffer
      - .actual_access:  read_only
        .address_space:  global
        .offset:         32
        .size:           8
        .value_kind:     global_buffer
      - .offset:         40
        .size:           8
        .value_kind:     by_value
      - .actual_access:  read_only
        .address_space:  global
        .offset:         48
        .size:           8
        .value_kind:     global_buffer
      - .actual_access:  read_only
        .address_space:  global
        .offset:         56
        .size:           8
        .value_kind:     global_buffer
      - .offset:         64
        .size:           4
        .value_kind:     by_value
      - .actual_access:  read_only
        .address_space:  global
        .offset:         72
        .size:           8
        .value_kind:     global_buffer
      - .actual_access:  read_only
        .address_space:  global
        .offset:         80
        .size:           8
        .value_kind:     global_buffer
      - .actual_access:  read_only
        .address_space:  global
        .offset:         88
        .size:           8
        .value_kind:     global_buffer
      - .actual_access:  write_only
        .address_space:  global
        .offset:         96
        .size:           8
        .value_kind:     global_buffer
    .group_segment_fixed_size: 0
    .kernarg_segment_align: 8
    .kernarg_segment_size: 104
    .language:       OpenCL C
    .language_version:
      - 2
      - 0
    .max_flat_workgroup_size: 182
    .name:           fft_rtc_fwd_len1001_factors_13_7_11_wgs_182_tpt_91_halfLds_sp_op_CI_CI_sbrr_dirReg
    .private_segment_fixed_size: 0
    .sgpr_count:     36
    .sgpr_spill_count: 0
    .symbol:         fft_rtc_fwd_len1001_factors_13_7_11_wgs_182_tpt_91_halfLds_sp_op_CI_CI_sbrr_dirReg.kd
    .uniform_work_group_size: 1
    .uses_dynamic_stack: false
    .vgpr_count:     115
    .vgpr_spill_count: 0
    .wavefront_size: 64
amdhsa.target:   amdgcn-amd-amdhsa--gfx906
amdhsa.version:
  - 1
  - 2
...

	.end_amdgpu_metadata
